;; amdgpu-corpus repo=ROCm/rocFFT kind=compiled arch=gfx1201 opt=O3
	.text
	.amdgcn_target "amdgcn-amd-amdhsa--gfx1201"
	.amdhsa_code_object_version 6
	.protected	bluestein_single_fwd_len2048_dim1_dp_op_CI_CI ; -- Begin function bluestein_single_fwd_len2048_dim1_dp_op_CI_CI
	.globl	bluestein_single_fwd_len2048_dim1_dp_op_CI_CI
	.p2align	8
	.type	bluestein_single_fwd_len2048_dim1_dp_op_CI_CI,@function
bluestein_single_fwd_len2048_dim1_dp_op_CI_CI: ; @bluestein_single_fwd_len2048_dim1_dp_op_CI_CI
; %bb.0:
	s_load_b128 s[8:11], s[0:1], 0x28
	s_mov_b32 s2, ttmp9
	s_mov_b32 s3, 0
	s_mov_b32 s5, exec_lo
	s_wait_kmcnt 0x0
	v_cmpx_lt_u64_e64 s[2:3], s[8:9]
	s_cbranch_execz .LBB0_23
; %bb.1:
	s_clause 0x1
	s_load_b64 s[12:13], s[0:1], 0x0
	s_load_b64 s[8:9], s[0:1], 0x38
	v_dual_mov_b32 v162, s3 :: v_dual_mov_b32 v161, s2
	v_cmp_gt_u32_e32 vcc_lo, 0x80, v0
	v_lshlrev_b32_e32 v170, 4, v0
	v_or_b32_e32 v162, 0x80, v0
	v_or_b32_e32 v163, 0x180, v0
	;; [unrolled: 1-line block ×8, first 2 shown]
	s_and_saveexec_b32 s3, vcc_lo
	s_cbranch_execz .LBB0_3
; %bb.2:
	s_load_b64 s[4:5], s[0:1], 0x18
	s_wait_kmcnt 0x0
	s_load_b128 s[4:7], s[4:5], 0x0
	s_clause 0x5
	global_load_b128 v[1:4], v170, s[12:13]
	global_load_b128 v[5:8], v170, s[12:13] offset:2048
	global_load_b128 v[9:12], v170, s[12:13] offset:4096
	;; [unrolled: 1-line block ×5, first 2 shown]
	s_wait_kmcnt 0x0
	v_mad_co_u64_u32 v[25:26], null, s6, v161, 0
	v_mad_co_u64_u32 v[27:28], null, s4, v0, 0
	;; [unrolled: 1-line block ×5, first 2 shown]
	s_delay_alu instid0(VALU_DEP_4)
	v_mad_co_u64_u32 v[37:38], null, s7, v161, v[26:27]
	v_mad_co_u64_u32 v[49:50], null, s4, v165, 0
	;; [unrolled: 1-line block ×5, first 2 shown]
	v_mov_b32_e32 v26, v37
	v_mad_co_u64_u32 v[53:54], null, s4, v167, 0
	v_mad_co_u64_u32 v[40:41], null, s5, v163, v[32:33]
	v_dual_mov_b32 v35, v50 :: v_dual_mov_b32 v28, v38
	s_delay_alu instid0(VALU_DEP_4) | instskip(SKIP_2) | instid1(VALU_DEP_4)
	v_lshlrev_b64_e32 v[25:26], 4, v[25:26]
	v_mov_b32_e32 v30, v39
	v_mov_b32_e32 v36, v54
	v_mad_co_u64_u32 v[41:42], null, s5, v164, v[34:35]
	v_lshlrev_b64_e32 v[27:28], 4, v[27:28]
	v_mov_b32_e32 v32, v40
	v_add_co_u32 v67, s2, s10, v25
	v_lshlrev_b64_e32 v[29:30], 4, v[29:30]
	s_wait_alu 0xf1ff
	v_add_co_ci_u32_e64 v68, s2, s11, v26, s2
	v_lshlrev_b64_e32 v[31:32], 4, v[31:32]
	v_add_co_u32 v27, s2, v67, v27
	v_mov_b32_e32 v34, v41
	s_wait_alu 0xf1ff
	v_add_co_ci_u32_e64 v28, s2, v68, v28, s2
	v_add_co_u32 v29, s2, v67, v29
	v_mad_co_u64_u32 v[42:43], null, s5, v165, v[35:36]
	s_wait_alu 0xf1ff
	v_add_co_ci_u32_e64 v30, s2, v68, v30, s2
	v_mad_co_u64_u32 v[54:55], null, s5, v167, v[36:37]
	v_lshlrev_b64_e32 v[25:26], 4, v[33:34]
	v_add_co_u32 v37, s2, v67, v31
	s_lshl_b64 s[14:15], s[4:5], 12
	v_add_co_ci_u32_e64 v38, s2, v68, v32, s2
	v_add_co_u32 v33, s2, v27, s14
	s_wait_alu 0xf1ff
	v_add_co_ci_u32_e64 v34, s2, s15, v28, s2
	v_mov_b32_e32 v50, v42
	v_add_co_u32 v45, s2, v67, v25
	s_wait_alu 0xf1ff
	v_add_co_ci_u32_e64 v46, s2, v68, v26, s2
	v_add_co_u32 v55, s2, v33, s14
	v_mad_co_u64_u32 v[51:52], null, s4, v166, 0
	s_wait_alu 0xf1ff
	v_add_co_ci_u32_e64 v56, s2, s15, v34, s2
	v_mad_co_u64_u32 v[57:58], null, s4, v168, 0
	v_lshlrev_b64_e32 v[49:50], 4, v[49:50]
	v_add_co_u32 v77, s2, v55, s14
	s_wait_alu 0xf1ff
	v_add_co_ci_u32_e64 v78, s2, s15, v56, s2
	s_clause 0x5
	global_load_b128 v[25:28], v[27:28], off
	global_load_b128 v[29:32], v[29:30], off
	;; [unrolled: 1-line block ×6, first 2 shown]
	v_add_co_u32 v81, s2, v67, v49
	v_mad_co_u64_u32 v[55:56], null, s5, v166, v[52:53]
	v_mov_b32_e32 v52, v58
	s_wait_alu 0xf1ff
	v_add_co_ci_u32_e64 v82, s2, v68, v50, s2
	v_lshlrev_b64_e32 v[49:50], 4, v[53:54]
	v_mov_b32_e32 v53, v62
	s_delay_alu instid0(VALU_DEP_1) | instskip(SKIP_1) | instid1(VALU_DEP_4)
	v_mad_co_u64_u32 v[58:59], null, s5, v168, v[52:53]
	v_mad_co_u64_u32 v[53:54], null, s5, v169, v[53:54]
	v_add_co_u32 v49, s2, v67, v49
	v_mov_b32_e32 v52, v55
	s_wait_alu 0xf1ff
	v_add_co_ci_u32_e64 v50, s2, v68, v50, s2
	v_lshlrev_b64_e32 v[65:66], 4, v[57:58]
	v_mov_b32_e32 v62, v53
	v_add_co_u32 v93, s2, v77, s14
	s_wait_alu 0xf1ff
	v_add_co_ci_u32_e64 v94, s2, s15, v78, s2
	s_delay_alu instid0(VALU_DEP_3) | instskip(SKIP_4) | instid1(VALU_DEP_4)
	v_lshlrev_b64_e32 v[61:62], 4, v[61:62]
	v_lshlrev_b64_e32 v[63:64], 4, v[51:52]
	v_add_co_u32 v65, s2, v67, v65
	s_wait_alu 0xf1ff
	v_add_co_ci_u32_e64 v66, s2, v68, v66, s2
	v_add_co_u32 v69, s2, v67, v61
	s_wait_alu 0xf1ff
	v_add_co_ci_u32_e64 v70, s2, v68, v62, s2
	;; [unrolled: 3-line block ×4, first 2 shown]
	global_load_b128 v[49:52], v[49:50], off
	s_clause 0x1
	global_load_b128 v[53:56], v170, s[12:13] offset:20480
	global_load_b128 v[57:60], v170, s[12:13] offset:22528
	v_add_co_u32 v117, s2, v109, s14
	global_load_b128 v[61:64], v[65:66], off
	global_load_b128 v[65:68], v170, s[12:13] offset:26624
	global_load_b128 v[69:72], v[69:70], off
	global_load_b128 v[73:76], v170, s[12:13] offset:30720
	s_clause 0x1
	global_load_b128 v[77:80], v[77:78], off
	global_load_b128 v[81:84], v[81:82], off
	s_clause 0x1
	global_load_b128 v[85:88], v170, s[12:13] offset:12288
	global_load_b128 v[89:92], v170, s[12:13] offset:14336
	s_wait_alu 0xf1ff
	v_add_co_ci_u32_e64 v118, s2, s15, v110, s2
	s_clause 0x1
	global_load_b128 v[93:96], v[93:94], off
	global_load_b128 v[97:100], v[97:98], off
	s_clause 0x1
	global_load_b128 v[101:104], v170, s[12:13] offset:16384
	global_load_b128 v[105:108], v170, s[12:13] offset:18432
	v_add_co_u32 v125, s2, v117, s14
	s_wait_alu 0xf1ff
	v_add_co_ci_u32_e64 v126, s2, s15, v118, s2
	global_load_b128 v[109:112], v[109:110], off
	global_load_b128 v[113:116], v170, s[12:13] offset:24576
	global_load_b128 v[117:120], v[117:118], off
	global_load_b128 v[121:124], v170, s[12:13] offset:28672
	global_load_b128 v[125:128], v[125:126], off
	s_wait_loadcnt 0x19
	v_mul_f64_e32 v[129:130], v[27:28], v[3:4]
	v_mul_f64_e32 v[3:4], v[25:26], v[3:4]
	s_wait_loadcnt 0x18
	v_mul_f64_e32 v[131:132], v[31:32], v[7:8]
	v_mul_f64_e32 v[7:8], v[29:30], v[7:8]
	;; [unrolled: 3-line block ×6, first 2 shown]
	v_fma_f64 v[23:24], v[25:26], v[1:2], v[129:130]
	v_fma_f64 v[25:26], v[27:28], v[1:2], -v[3:4]
	v_fma_f64 v[1:2], v[29:30], v[5:6], v[131:132]
	v_fma_f64 v[3:4], v[31:32], v[5:6], -v[7:8]
	;; [unrolled: 2-line block ×5, first 2 shown]
	v_fma_f64 v[19:20], v[45:46], v[21:22], v[147:148]
	s_wait_loadcnt 0xf
	v_mul_f64_e32 v[135:136], v[63:64], v[67:68]
	v_mul_f64_e32 v[67:68], v[61:62], v[67:68]
	s_wait_loadcnt 0xd
	v_mul_f64_e32 v[137:138], v[71:72], v[75:76]
	v_mul_f64_e32 v[133:134], v[51:52], v[59:60]
	;; [unrolled: 1-line block ×3, first 2 shown]
	s_wait_loadcnt 0xa
	v_mul_f64_e32 v[151:152], v[79:80], v[87:88]
	v_mul_f64_e32 v[87:88], v[77:78], v[87:88]
	s_wait_loadcnt 0x9
	v_mul_f64_e32 v[153:154], v[83:84], v[91:92]
	v_mul_f64_e32 v[91:92], v[81:82], v[91:92]
	;; [unrolled: 3-line block ×7, first 2 shown]
	v_mul_f64_e32 v[75:76], v[69:70], v[75:76]
	v_fma_f64 v[21:22], v[47:48], v[21:22], -v[149:150]
	v_fma_f64 v[27:28], v[61:62], v[65:66], v[135:136]
	v_fma_f64 v[29:30], v[63:64], v[65:66], -v[67:68]
	v_fma_f64 v[11:12], v[69:70], v[73:74], v[137:138]
	v_fma_f64 v[5:6], v[49:50], v[57:58], v[133:134]
	v_fma_f64 v[7:8], v[51:52], v[57:58], -v[59:60]
	v_fma_f64 v[39:40], v[77:78], v[85:86], v[151:152]
	v_fma_f64 v[41:42], v[79:80], v[85:86], -v[87:88]
	;; [unrolled: 2-line block ×8, first 2 shown]
	v_fma_f64 v[13:14], v[71:72], v[73:74], -v[75:76]
	ds_store_b128 v170, v[23:26]
	ds_store_b128 v170, v[1:4] offset:2048
	ds_store_b128 v170, v[31:34] offset:4096
	;; [unrolled: 1-line block ×15, first 2 shown]
.LBB0_3:
	s_wait_alu 0xfffe
	s_or_b32 exec_lo, exec_lo, s3
	global_wb scope:SCOPE_SE
	s_wait_dscnt 0x0
	s_wait_kmcnt 0x0
	s_barrier_signal -1
	s_barrier_wait -1
	global_inv scope:SCOPE_SE
                                        ; implicit-def: $vgpr1_vgpr2
                                        ; implicit-def: $vgpr29_vgpr30
                                        ; implicit-def: $vgpr45_vgpr46
                                        ; implicit-def: $vgpr57_vgpr58
                                        ; implicit-def: $vgpr53_vgpr54
                                        ; implicit-def: $vgpr61_vgpr62
                                        ; implicit-def: $vgpr49_vgpr50
                                        ; implicit-def: $vgpr41_vgpr42
                                        ; implicit-def: $vgpr33_vgpr34
                                        ; implicit-def: $vgpr37_vgpr38
                                        ; implicit-def: $vgpr25_vgpr26
                                        ; implicit-def: $vgpr21_vgpr22
                                        ; implicit-def: $vgpr17_vgpr18
                                        ; implicit-def: $vgpr13_vgpr14
                                        ; implicit-def: $vgpr9_vgpr10
                                        ; implicit-def: $vgpr5_vgpr6
	s_and_saveexec_b32 s2, vcc_lo
	s_cbranch_execz .LBB0_5
; %bb.4:
	v_or_b32_e32 v37, 0x3800, v170
	v_or_b32_e32 v45, 0x7800, v170
	ds_load_b128 v[1:4], v170
	ds_load_b128 v[5:8], v170 offset:2048
	ds_load_b128 v[9:12], v170 offset:4096
	ds_load_b128 v[13:16], v170 offset:6144
	ds_load_b128 v[17:20], v170 offset:8192
	ds_load_b128 v[21:24], v170 offset:10240
	ds_load_b128 v[25:28], v170 offset:12288
	ds_load_b128 v[33:36], v170 offset:16384
	ds_load_b128 v[29:32], v170 offset:18432
	ds_load_b128 v[41:44], v170 offset:20480
	ds_load_b128 v[49:52], v170 offset:22528
	ds_load_b128 v[61:64], v170 offset:24576
	ds_load_b128 v[53:56], v170 offset:26624
	ds_load_b128 v[57:60], v170 offset:28672
	ds_load_b128 v[37:40], v37
	ds_load_b128 v[45:48], v45
.LBB0_5:
	s_wait_alu 0xfffe
	s_or_b32 exec_lo, exec_lo, s2
	s_wait_dscnt 0x8
	v_add_f64_e64 v[33:34], v[1:2], -v[33:34]
	v_add_f64_e64 v[35:36], v[3:4], -v[35:36]
	s_wait_dscnt 0x4
	v_add_f64_e64 v[61:62], v[17:18], -v[61:62]
	v_add_f64_e64 v[63:64], v[19:20], -v[63:64]
	;; [unrolled: 1-line block ×4, first 2 shown]
	s_wait_dscnt 0x2
	v_add_f64_e64 v[57:58], v[25:26], -v[57:58]
	v_add_f64_e64 v[59:60], v[27:28], -v[59:60]
	;; [unrolled: 1-line block ×8, first 2 shown]
	s_wait_dscnt 0x0
	v_add_f64_e64 v[47:48], v[39:40], -v[47:48]
	v_add_f64_e64 v[45:46], v[37:38], -v[45:46]
	s_mov_b32 s2, 0x667f3bcd
	s_mov_b32 s3, 0xbfe6a09e
	;; [unrolled: 1-line block ×3, first 2 shown]
	s_wait_alu 0xfffe
	s_mov_b32 s4, s2
	s_mov_b32 s6, 0xcf328d46
	;; [unrolled: 1-line block ×7, first 2 shown]
	s_wait_alu 0xfffe
	s_mov_b32 s14, s10
	s_mov_b32 s16, s6
	v_lshlrev_b32_e32 v172, 8, v0
	global_wb scope:SCOPE_SE
	s_barrier_signal -1
	s_barrier_wait -1
	global_inv scope:SCOPE_SE
	v_fma_f64 v[1:2], v[1:2], 2.0, -v[33:34]
	v_fma_f64 v[3:4], v[3:4], 2.0, -v[35:36]
	v_add_f64_e32 v[67:68], v[35:36], v[61:62]
	v_add_f64_e64 v[65:66], v[33:34], -v[63:64]
	v_fma_f64 v[17:18], v[17:18], 2.0, -v[61:62]
	v_fma_f64 v[19:20], v[19:20], 2.0, -v[63:64]
	v_add_f64_e32 v[71:72], v[57:58], v[43:44]
	v_add_f64_e64 v[69:70], v[41:42], -v[59:60]
	;; [unrolled: 4-line block ×3, first 2 shown]
	v_fma_f64 v[25:26], v[25:26], 2.0, -v[57:58]
	v_fma_f64 v[27:28], v[27:28], 2.0, -v[59:60]
	v_add_f64_e64 v[77:78], v[49:50], -v[47:48]
	v_add_f64_e32 v[79:80], v[45:46], v[51:52]
	v_fma_f64 v[5:6], v[5:6], 2.0, -v[29:30]
	v_fma_f64 v[7:8], v[7:8], 2.0, -v[31:32]
	;; [unrolled: 1-line block ×10, first 2 shown]
	v_add_f64_e64 v[17:18], v[1:2], -v[17:18]
	v_add_f64_e64 v[19:20], v[3:4], -v[19:20]
	v_fma_f64 v[43:44], v[43:44], 2.0, -v[71:72]
	v_fma_f64 v[41:42], v[41:42], 2.0, -v[69:70]
	;; [unrolled: 1-line block ×4, first 2 shown]
	v_add_f64_e64 v[25:26], v[9:10], -v[25:26]
	v_add_f64_e64 v[27:28], v[11:12], -v[27:28]
	v_fma_f64 v[45:46], v[49:50], 2.0, -v[77:78]
	v_fma_f64 v[47:48], v[51:52], 2.0, -v[79:80]
	v_fma_f64 v[49:50], v[69:70], s[4:5], v[65:66]
	v_fma_f64 v[51:52], v[71:72], s[4:5], v[67:68]
	v_add_f64_e64 v[21:22], v[5:6], -v[21:22]
	v_add_f64_e64 v[23:24], v[7:8], -v[23:24]
	v_fma_f64 v[53:54], v[77:78], s[4:5], v[73:74]
	v_fma_f64 v[55:56], v[79:80], s[4:5], v[75:76]
	v_add_f64_e64 v[37:38], v[13:14], -v[37:38]
	v_add_f64_e64 v[39:40], v[15:16], -v[39:40]
	v_fma_f64 v[1:2], v[1:2], 2.0, -v[17:18]
	v_fma_f64 v[3:4], v[3:4], 2.0, -v[19:20]
	v_fma_f64 v[59:60], v[43:44], s[2:3], v[35:36]
	v_fma_f64 v[57:58], v[41:42], s[2:3], v[33:34]
	v_fma_f64 v[9:10], v[9:10], 2.0, -v[25:26]
	v_fma_f64 v[11:12], v[11:12], 2.0, -v[27:28]
	v_fma_f64 v[61:62], v[45:46], s[2:3], v[29:30]
	v_fma_f64 v[63:64], v[47:48], s[2:3], v[31:32]
	v_add_f64_e64 v[27:28], v[17:18], -v[27:28]
	v_add_f64_e32 v[25:26], v[19:20], v[25:26]
	v_fma_f64 v[5:6], v[5:6], 2.0, -v[21:22]
	v_fma_f64 v[7:8], v[7:8], 2.0, -v[23:24]
	v_fma_f64 v[49:50], v[71:72], s[2:3], v[49:50]
	v_fma_f64 v[51:52], v[69:70], s[4:5], v[51:52]
	v_fma_f64 v[13:14], v[13:14], 2.0, -v[37:38]
	v_fma_f64 v[15:16], v[15:16], 2.0, -v[39:40]
	v_add_f64_e64 v[39:40], v[21:22], -v[39:40]
	v_add_f64_e32 v[37:38], v[37:38], v[23:24]
	v_fma_f64 v[53:54], v[79:80], s[2:3], v[53:54]
	v_fma_f64 v[55:56], v[77:78], s[4:5], v[55:56]
	;; [unrolled: 1-line block ×4, first 2 shown]
	v_add_f64_e64 v[9:10], v[1:2], -v[9:10]
	v_add_f64_e64 v[11:12], v[3:4], -v[11:12]
	v_fma_f64 v[47:48], v[47:48], s[2:3], v[61:62]
	v_fma_f64 v[45:46], v[45:46], s[4:5], v[63:64]
	v_fma_f64 v[17:18], v[17:18], 2.0, -v[27:28]
	v_fma_f64 v[19:20], v[19:20], 2.0, -v[25:26]
	;; [unrolled: 1-line block ×4, first 2 shown]
	v_add_f64_e64 v[13:14], v[5:6], -v[13:14]
	v_add_f64_e64 v[15:16], v[7:8], -v[15:16]
	v_fma_f64 v[21:22], v[21:22], 2.0, -v[39:40]
	v_fma_f64 v[23:24], v[23:24], 2.0, -v[37:38]
	;; [unrolled: 1-line block ×4, first 2 shown]
	v_fma_f64 v[65:66], v[39:40], s[4:5], v[27:28]
	v_fma_f64 v[67:68], v[37:38], s[4:5], v[25:26]
	;; [unrolled: 1-line block ×4, first 2 shown]
	v_fma_f64 v[35:36], v[35:36], 2.0, -v[41:42]
	v_fma_f64 v[33:34], v[33:34], 2.0, -v[43:44]
	;; [unrolled: 1-line block ×6, first 2 shown]
	s_wait_alu 0xfffe
	v_fma_f64 v[79:80], v[47:48], s[14:15], v[43:44]
	v_fma_f64 v[81:82], v[45:46], s[14:15], v[41:42]
	v_fma_f64 v[5:6], v[5:6], 2.0, -v[13:14]
	v_fma_f64 v[7:8], v[7:8], 2.0, -v[15:16]
	v_fma_f64 v[71:72], v[21:22], s[2:3], v[17:18]
	v_fma_f64 v[73:74], v[23:24], s[2:3], v[19:20]
	v_fma_f64 v[75:76], v[61:62], s[10:11], v[57:58]
	v_fma_f64 v[77:78], v[63:64], s[10:11], v[59:60]
	v_add_f64_e64 v[113:114], v[9:10], -v[15:16]
	v_add_f64_e32 v[115:116], v[11:12], v[13:14]
	v_fma_f64 v[109:110], v[37:38], s[2:3], v[65:66]
	v_fma_f64 v[111:112], v[39:40], s[4:5], v[67:68]
	;; [unrolled: 1-line block ×8, first 2 shown]
	v_add_f64_e64 v[85:86], v[1:2], -v[5:6]
	v_add_f64_e64 v[87:88], v[3:4], -v[7:8]
	v_fma_f64 v[97:98], v[23:24], s[2:3], v[71:72]
	v_fma_f64 v[99:100], v[21:22], s[4:5], v[73:74]
	;; [unrolled: 1-line block ×4, first 2 shown]
	v_fma_f64 v[73:74], v[9:10], 2.0, -v[113:114]
	v_fma_f64 v[75:76], v[11:12], 2.0, -v[115:116]
	;; [unrolled: 1-line block ×5, first 2 shown]
	v_fma_f64 v[93:94], v[31:32], s[10:11], v[83:84]
	v_fma_f64 v[95:96], v[29:30], s[14:15], v[89:90]
	v_fma_f64 v[89:90], v[27:28], 2.0, -v[109:110]
	v_fma_f64 v[81:82], v[43:44], 2.0, -v[117:118]
	;; [unrolled: 1-line block ×11, first 2 shown]
	s_and_saveexec_b32 s2, vcc_lo
	s_cbranch_execz .LBB0_7
; %bb.6:
	ds_store_b128 v172, v[61:64]
	ds_store_b128 v172, v[65:68] offset:16
	ds_store_b128 v172, v[69:72] offset:32
	;; [unrolled: 1-line block ×15, first 2 shown]
.LBB0_7:
	s_wait_alu 0xfffe
	s_or_b32 exec_lo, exec_lo, s2
	s_clause 0x1
	s_load_b64 s[2:3], s[0:1], 0x20
	s_load_b64 s[0:1], s[0:1], 0x8
	global_wb scope:SCOPE_SE
	s_wait_dscnt 0x0
	s_wait_kmcnt 0x0
	s_barrier_signal -1
	s_barrier_wait -1
	global_inv scope:SCOPE_SE
	s_and_saveexec_b32 s4, vcc_lo
	s_cbranch_execz .LBB0_9
; %bb.8:
	v_or_b32_e32 v1, 0x3800, v170
	ds_load_b128 v[61:64], v170
	ds_load_b128 v[65:68], v170 offset:2048
	ds_load_b128 v[69:72], v170 offset:4096
	;; [unrolled: 1-line block ×9, first 2 shown]
	v_or_b32_e32 v2, 0x7800, v170
	ds_load_b128 v[105:108], v170 offset:22528
	ds_load_b128 v[113:116], v170 offset:24576
	;; [unrolled: 1-line block ×4, first 2 shown]
	ds_load_b128 v[121:124], v1
	ds_load_b128 v[101:104], v2
.LBB0_9:
	s_wait_alu 0xfffe
	s_or_b32 exec_lo, exec_lo, s4
	v_and_b32_e32 v171, 15, v0
	s_mov_b32 s4, 0x667f3bcd
	s_mov_b32 s5, 0xbfe6a09e
	;; [unrolled: 1-line block ×3, first 2 shown]
	s_wait_alu 0xfffe
	s_mov_b32 s6, s4
	v_mad_co_u64_u32 v[53:54], null, 0xf0, v171, s[0:1]
	s_mov_b32 s10, 0xcf328d46
	s_mov_b32 s14, 0xa6aea964
	;; [unrolled: 1-line block ×6, first 2 shown]
	s_clause 0xe
	global_load_b128 v[1:4], v[53:54], off
	global_load_b128 v[13:16], v[53:54], off offset:16
	global_load_b128 v[9:12], v[53:54], off offset:32
	;; [unrolled: 1-line block ×14, first 2 shown]
	s_wait_alu 0xfffe
	s_mov_b32 s16, s14
	s_mov_b32 s18, s10
	global_wb scope:SCOPE_SE
	s_wait_loadcnt_dscnt 0x0
	s_barrier_signal -1
	s_barrier_wait -1
	global_inv scope:SCOPE_SE
	v_mul_f64_e32 v[125:126], v[67:68], v[3:4]
	v_mul_f64_e32 v[127:128], v[65:66], v[3:4]
	;; [unrolled: 1-line block ×30, first 2 shown]
	v_fma_f64 v[65:66], v[65:66], v[1:2], -v[125:126]
	v_fma_f64 v[67:68], v[67:68], v[1:2], v[127:128]
	v_fma_f64 v[69:70], v[69:70], v[13:14], -v[129:130]
	v_fma_f64 v[71:72], v[71:72], v[13:14], v[131:132]
	;; [unrolled: 2-line block ×14, first 2 shown]
	v_fma_f64 v[103:104], v[103:104], v[53:54], v[193:194]
	v_fma_f64 v[101:102], v[101:102], v[53:54], -v[195:196]
	v_add_f64_e64 v[85:86], v[61:62], -v[85:86]
	v_add_f64_e64 v[87:88], v[63:64], -v[87:88]
	;; [unrolled: 1-line block ×16, first 2 shown]
	v_fma_f64 v[61:62], v[61:62], 2.0, -v[85:86]
	v_fma_f64 v[63:64], v[63:64], 2.0, -v[87:88]
	v_add_f64_e32 v[127:128], v[87:88], v[113:114]
	v_add_f64_e64 v[125:126], v[85:86], -v[115:116]
	v_fma_f64 v[73:74], v[73:74], 2.0, -v[113:114]
	v_fma_f64 v[75:76], v[75:76], 2.0, -v[115:116]
	v_add_f64_e32 v[131:132], v[99:100], v[109:110]
	v_add_f64_e64 v[129:130], v[97:98], -v[111:112]
	;; [unrolled: 4-line block ×3, first 2 shown]
	v_fma_f64 v[89:90], v[89:90], 2.0, -v[109:110]
	v_fma_f64 v[91:92], v[91:92], 2.0, -v[111:112]
	v_add_f64_e64 v[137:138], v[105:106], -v[103:104]
	v_add_f64_e32 v[139:140], v[107:108], v[101:102]
	v_fma_f64 v[65:66], v[65:66], 2.0, -v[93:94]
	v_fma_f64 v[67:68], v[67:68], 2.0, -v[95:96]
	;; [unrolled: 1-line block ×10, first 2 shown]
	v_add_f64_e64 v[73:74], v[61:62], -v[73:74]
	v_add_f64_e64 v[75:76], v[63:64], -v[75:76]
	v_fma_f64 v[99:100], v[99:100], 2.0, -v[131:132]
	v_fma_f64 v[97:98], v[97:98], 2.0, -v[129:130]
	;; [unrolled: 1-line block ×4, first 2 shown]
	v_add_f64_e64 v[85:86], v[69:70], -v[89:90]
	v_add_f64_e64 v[89:90], v[71:72], -v[91:92]
	v_fma_f64 v[105:106], v[105:106], 2.0, -v[137:138]
	v_fma_f64 v[107:108], v[107:108], 2.0, -v[139:140]
	v_fma_f64 v[113:114], v[137:138], s[6:7], v[133:134]
	v_fma_f64 v[115:116], v[139:140], s[6:7], v[135:136]
	v_add_f64_e64 v[91:92], v[65:66], -v[81:82]
	v_add_f64_e64 v[111:112], v[67:68], -v[83:84]
	v_fma_f64 v[81:82], v[129:130], s[6:7], v[125:126]
	v_fma_f64 v[83:84], v[131:132], s[6:7], v[127:128]
	v_add_f64_e64 v[101:102], v[77:78], -v[101:102]
	v_add_f64_e64 v[103:104], v[79:80], -v[103:104]
	v_fma_f64 v[143:144], v[61:62], 2.0, -v[73:74]
	v_fma_f64 v[145:146], v[63:64], 2.0, -v[75:76]
	v_fma_f64 v[119:120], v[99:100], s[4:5], v[87:88]
	v_fma_f64 v[117:118], v[97:98], s[4:5], v[109:110]
	v_fma_f64 v[69:70], v[69:70], 2.0, -v[85:86]
	v_fma_f64 v[71:72], v[71:72], 2.0, -v[89:90]
	v_fma_f64 v[121:122], v[105:106], s[4:5], v[93:94]
	v_fma_f64 v[141:142], v[107:108], s[4:5], v[95:96]
	v_add_f64_e64 v[61:62], v[73:74], -v[89:90]
	v_add_f64_e32 v[85:86], v[75:76], v[85:86]
	v_fma_f64 v[147:148], v[65:66], 2.0, -v[91:92]
	v_fma_f64 v[149:150], v[67:68], 2.0, -v[111:112]
	v_fma_f64 v[63:64], v[131:132], s[4:5], v[81:82]
	v_fma_f64 v[123:124], v[129:130], s[6:7], v[83:84]
	v_fma_f64 v[89:90], v[77:78], 2.0, -v[101:102]
	v_fma_f64 v[129:130], v[79:80], 2.0, -v[103:104]
	v_add_f64_e64 v[103:104], v[91:92], -v[103:104]
	v_add_f64_e32 v[101:102], v[111:112], v[101:102]
	v_fma_f64 v[131:132], v[139:140], s[4:5], v[113:114]
	v_fma_f64 v[113:114], v[137:138], s[6:7], v[115:116]
	v_fma_f64 v[83:84], v[97:98], s[6:7], v[119:120]
	v_fma_f64 v[65:66], v[99:100], s[4:5], v[117:118]
	v_add_f64_e64 v[67:68], v[143:144], -v[69:70]
	v_add_f64_e64 v[81:82], v[145:146], -v[71:72]
	v_fma_f64 v[115:116], v[107:108], s[4:5], v[121:122]
	v_fma_f64 v[137:138], v[105:106], s[6:7], v[141:142]
	v_fma_f64 v[69:70], v[73:74], 2.0, -v[61:62]
	v_fma_f64 v[77:78], v[75:76], 2.0, -v[85:86]
	;; [unrolled: 1-line block ×4, first 2 shown]
	v_add_f64_e64 v[89:90], v[147:148], -v[89:90]
	v_add_f64_e64 v[97:98], v[149:150], -v[129:130]
	v_fma_f64 v[99:100], v[91:92], 2.0, -v[103:104]
	v_fma_f64 v[105:106], v[111:112], 2.0, -v[101:102]
	;; [unrolled: 1-line block ×4, first 2 shown]
	v_fma_f64 v[91:92], v[103:104], s[6:7], v[61:62]
	v_fma_f64 v[129:130], v[131:132], s[18:19], v[63:64]
	v_fma_f64 v[155:156], v[113:114], s[18:19], v[123:124]
	v_fma_f64 v[75:76], v[87:88], 2.0, -v[83:84]
	v_fma_f64 v[73:74], v[109:110], 2.0, -v[65:66]
	;; [unrolled: 1-line block ×6, first 2 shown]
	v_fma_f64 v[95:96], v[101:102], s[6:7], v[85:86]
	v_fma_f64 v[133:134], v[147:148], 2.0, -v[89:90]
	v_fma_f64 v[135:136], v[149:150], 2.0, -v[97:98]
	v_fma_f64 v[139:140], v[99:100], s[4:5], v[69:70]
	v_fma_f64 v[141:142], v[105:106], s[4:5], v[77:78]
	;; [unrolled: 1-line block ×4, first 2 shown]
	s_wait_alu 0xfffe
	v_fma_f64 v[147:148], v[115:116], s[16:17], v[65:66]
	v_fma_f64 v[149:150], v[137:138], s[16:17], v[83:84]
	v_add_f64_e64 v[117:118], v[67:68], -v[97:98]
	v_add_f64_e32 v[119:120], v[81:82], v[89:90]
	v_fma_f64 v[109:110], v[101:102], s[4:5], v[91:92]
	v_fma_f64 v[101:102], v[113:114], s[14:15], v[129:130]
	;; [unrolled: 1-line block ×6, first 2 shown]
	v_add_f64_e64 v[89:90], v[87:88], -v[133:134]
	v_add_f64_e64 v[91:92], v[121:122], -v[135:136]
	v_fma_f64 v[97:98], v[105:106], s[4:5], v[139:140]
	v_fma_f64 v[99:100], v[99:100], s[6:7], v[141:142]
	;; [unrolled: 1-line block ×8, first 2 shown]
	s_and_saveexec_b32 s10, vcc_lo
	s_cbranch_execz .LBB0_11
; %bb.10:
	v_fma_f64 v[139:140], v[121:122], 2.0, -v[91:92]
	v_fma_f64 v[137:138], v[87:88], 2.0, -v[89:90]
	s_delay_alu instid0(VALU_DEP_3)
	v_fma_f64 v[135:136], v[75:76], 2.0, -v[95:96]
	v_fma_f64 v[133:134], v[73:74], 2.0, -v[93:94]
	;; [unrolled: 1-line block ×14, first 2 shown]
	v_and_or_b32 v61, 0x700, v170, v171
	s_delay_alu instid0(VALU_DEP_1)
	v_lshlrev_b32_e32 v61, 4, v61
	ds_store_b128 v61, v[89:92] offset:2048
	ds_store_b128 v61, v[93:96] offset:2304
	;; [unrolled: 1-line block ×6, first 2 shown]
	ds_store_b128 v61, v[137:140]
	ds_store_b128 v61, v[133:136] offset:256
	ds_store_b128 v61, v[75:78] offset:512
	;; [unrolled: 1-line block ×9, first 2 shown]
.LBB0_11:
	s_wait_alu 0xfffe
	s_or_b32 exec_lo, exec_lo, s10
	v_mad_co_u64_u32 v[77:78], null, 0x70, v0, s[0:1]
	s_load_b128 s[0:3], s[2:3], 0x0
	global_wb scope:SCOPE_SE
	s_wait_dscnt 0x0
	s_wait_kmcnt 0x0
	s_barrier_signal -1
	s_barrier_wait -1
	global_inv scope:SCOPE_SE
	s_clause 0x6
	global_load_b128 v[69:72], v[77:78], off offset:3840
	global_load_b128 v[65:68], v[77:78], off offset:3856
	;; [unrolled: 1-line block ×7, first 2 shown]
	ds_load_b128 v[121:124], v170 offset:4096
	ds_load_b128 v[125:128], v170 offset:8192
	;; [unrolled: 1-line block ×7, first 2 shown]
	s_wait_loadcnt_dscnt 0x606
	v_mul_f64_e32 v[149:150], v[123:124], v[71:72]
	v_mul_f64_e32 v[151:152], v[121:122], v[71:72]
	s_wait_loadcnt_dscnt 0x505
	v_mul_f64_e32 v[153:154], v[127:128], v[67:68]
	v_mul_f64_e32 v[155:156], v[125:126], v[67:68]
	;; [unrolled: 3-line block ×7, first 2 shown]
	v_fma_f64 v[149:150], v[121:122], v[69:70], -v[149:150]
	v_fma_f64 v[151:152], v[123:124], v[69:70], v[151:152]
	v_fma_f64 v[125:126], v[125:126], v[65:66], -v[153:154]
	v_fma_f64 v[127:128], v[127:128], v[65:66], v[155:156]
	v_fma_f64 v[129:130], v[129:130], v[61:62], -v[157:158]
	v_fma_f64 v[131:132], v[131:132], v[61:62], v[159:160]
	v_fma_f64 v[133:134], v[133:134], v[73:74], -v[173:174]
	v_fma_f64 v[135:136], v[135:136], v[73:74], v[175:176]
	v_fma_f64 v[137:138], v[137:138], v[85:86], -v[177:178]
	v_fma_f64 v[139:140], v[139:140], v[85:86], v[179:180]
	v_fma_f64 v[141:142], v[141:142], v[81:82], -v[181:182]
	v_fma_f64 v[143:144], v[143:144], v[81:82], v[183:184]
	v_fma_f64 v[145:146], v[145:146], v[77:78], -v[185:186]
	v_fma_f64 v[147:148], v[147:148], v[77:78], v[187:188]
	ds_load_b128 v[121:124], v170
	s_wait_dscnt 0x0
	v_add_f64_e64 v[129:130], v[121:122], -v[129:130]
	v_add_f64_e64 v[131:132], v[123:124], -v[131:132]
	;; [unrolled: 1-line block ×8, first 2 shown]
	v_fma_f64 v[121:122], v[121:122], 2.0, -v[129:130]
	v_fma_f64 v[123:124], v[123:124], 2.0, -v[131:132]
	;; [unrolled: 1-line block ×6, first 2 shown]
	v_add_f64_e64 v[135:136], v[129:130], -v[135:136]
	v_add_f64_e32 v[153:154], v[131:132], v[133:134]
	v_fma_f64 v[133:134], v[141:142], 2.0, -v[145:146]
	v_fma_f64 v[141:142], v[143:144], 2.0, -v[147:148]
	v_add_f64_e64 v[143:144], v[137:138], -v[147:148]
	v_add_f64_e32 v[155:156], v[139:140], v[145:146]
	v_add_f64_e64 v[125:126], v[121:122], -v[125:126]
	v_add_f64_e64 v[127:128], v[123:124], -v[127:128]
	v_fma_f64 v[157:158], v[129:130], 2.0, -v[135:136]
	v_fma_f64 v[159:160], v[131:132], 2.0, -v[153:154]
	v_add_f64_e64 v[129:130], v[149:150], -v[133:134]
	v_add_f64_e64 v[131:132], v[151:152], -v[141:142]
	v_fma_f64 v[133:134], v[137:138], 2.0, -v[143:144]
	v_fma_f64 v[141:142], v[139:140], 2.0, -v[155:156]
	v_fma_f64 v[137:138], v[143:144], s[6:7], v[135:136]
	v_fma_f64 v[139:140], v[155:156], s[6:7], v[153:154]
	v_fma_f64 v[121:122], v[121:122], 2.0, -v[125:126]
	v_fma_f64 v[123:124], v[123:124], 2.0, -v[127:128]
	;; [unrolled: 1-line block ×4, first 2 shown]
	v_fma_f64 v[177:178], v[133:134], s[4:5], v[157:158]
	v_fma_f64 v[179:180], v[141:142], s[4:5], v[159:160]
	v_add_f64_e64 v[145:146], v[125:126], -v[131:132]
	v_add_f64_e32 v[147:148], v[127:128], v[129:130]
	v_fma_f64 v[149:150], v[155:156], s[4:5], v[137:138]
	v_fma_f64 v[151:152], v[143:144], s[6:7], v[139:140]
	v_add_f64_e64 v[137:138], v[121:122], -v[173:174]
	v_add_f64_e64 v[139:140], v[123:124], -v[175:176]
	v_fma_f64 v[141:142], v[141:142], s[4:5], v[177:178]
	v_fma_f64 v[143:144], v[133:134], s[6:7], v[179:180]
	v_fma_f64 v[129:130], v[125:126], 2.0, -v[145:146]
	v_fma_f64 v[131:132], v[127:128], 2.0, -v[147:148]
	;; [unrolled: 1-line block ×8, first 2 shown]
	ds_store_b128 v170, v[145:148] offset:24576
	ds_store_b128 v170, v[149:152] offset:28672
	;; [unrolled: 1-line block ×6, first 2 shown]
	ds_store_b128 v170, v[121:124]
	ds_store_b128 v170, v[125:128] offset:4096
	global_wb scope:SCOPE_SE
	s_wait_dscnt 0x0
	s_barrier_signal -1
	s_barrier_wait -1
	global_inv scope:SCOPE_SE
	s_and_saveexec_b32 s6, vcc_lo
	s_cbranch_execz .LBB0_13
; %bb.12:
	global_load_b128 v[153:156], v170, s[12:13] offset:32768
	s_add_nc_u64 s[4:5], s[12:13], 0x8000
	s_clause 0x3
	global_load_b128 v[157:160], v170, s[4:5] offset:2048
	global_load_b128 v[173:176], v170, s[4:5] offset:4096
	;; [unrolled: 1-line block ×4, first 2 shown]
	ds_load_b128 v[185:188], v170
	ds_load_b128 v[189:192], v170 offset:2048
	ds_load_b128 v[193:196], v170 offset:4096
	s_wait_loadcnt_dscnt 0x301
	v_mul_f64_e32 v[201:202], v[191:192], v[159:160]
	v_mul_f64_e32 v[197:198], v[187:188], v[155:156]
	;; [unrolled: 1-line block ×4, first 2 shown]
	s_delay_alu instid0(VALU_DEP_4) | instskip(NEXT) | instid1(VALU_DEP_4)
	v_fma_f64 v[189:190], v[189:190], v[157:158], -v[201:202]
	v_fma_f64 v[185:186], v[185:186], v[153:154], -v[197:198]
	s_delay_alu instid0(VALU_DEP_4)
	v_fma_f64 v[187:188], v[187:188], v[153:154], v[155:156]
	ds_load_b128 v[153:156], v170 offset:6144
	global_load_b128 v[197:200], v170, s[4:5] offset:10240
	v_fma_f64 v[191:192], v[191:192], v[157:158], v[159:160]
	s_wait_loadcnt_dscnt 0x301
	v_mul_f64_e32 v[157:158], v[195:196], v[175:176]
	v_mul_f64_e32 v[159:160], v[193:194], v[175:176]
	s_wait_loadcnt_dscnt 0x200
	v_mul_f64_e32 v[201:202], v[155:156], v[179:180]
	v_mul_f64_e32 v[179:180], v[153:154], v[179:180]
	s_delay_alu instid0(VALU_DEP_4) | instskip(NEXT) | instid1(VALU_DEP_4)
	v_fma_f64 v[157:158], v[193:194], v[173:174], -v[157:158]
	v_fma_f64 v[159:160], v[195:196], v[173:174], v[159:160]
	ds_load_b128 v[173:176], v170 offset:8192
	ds_load_b128 v[193:196], v170 offset:10240
	v_fma_f64 v[153:154], v[153:154], v[177:178], -v[201:202]
	v_fma_f64 v[155:156], v[155:156], v[177:178], v[179:180]
	global_load_b128 v[177:180], v170, s[4:5] offset:12288
	s_wait_loadcnt_dscnt 0x201
	v_mul_f64_e32 v[201:202], v[175:176], v[183:184]
	v_mul_f64_e32 v[183:184], v[173:174], v[183:184]
	s_delay_alu instid0(VALU_DEP_2) | instskip(NEXT) | instid1(VALU_DEP_2)
	v_fma_f64 v[173:174], v[173:174], v[181:182], -v[201:202]
	v_fma_f64 v[175:176], v[175:176], v[181:182], v[183:184]
	global_load_b128 v[181:184], v170, s[4:5] offset:14336
	s_wait_loadcnt_dscnt 0x200
	v_mul_f64_e32 v[201:202], v[195:196], v[199:200]
	v_mul_f64_e32 v[199:200], v[193:194], v[199:200]
	s_delay_alu instid0(VALU_DEP_2) | instskip(NEXT) | instid1(VALU_DEP_2)
	v_fma_f64 v[193:194], v[193:194], v[197:198], -v[201:202]
	v_fma_f64 v[195:196], v[195:196], v[197:198], v[199:200]
	ds_load_b128 v[197:200], v170 offset:12288
	ds_load_b128 v[201:204], v170 offset:14336
	s_wait_loadcnt_dscnt 0x101
	v_mul_f64_e32 v[205:206], v[199:200], v[179:180]
	v_mul_f64_e32 v[179:180], v[197:198], v[179:180]
	s_delay_alu instid0(VALU_DEP_2) | instskip(NEXT) | instid1(VALU_DEP_2)
	v_fma_f64 v[197:198], v[197:198], v[177:178], -v[205:206]
	v_fma_f64 v[199:200], v[199:200], v[177:178], v[179:180]
	s_wait_loadcnt_dscnt 0x0
	v_mul_f64_e32 v[177:178], v[203:204], v[183:184]
	v_mul_f64_e32 v[179:180], v[201:202], v[183:184]
	s_delay_alu instid0(VALU_DEP_2) | instskip(NEXT) | instid1(VALU_DEP_2)
	v_fma_f64 v[177:178], v[201:202], v[181:182], -v[177:178]
	v_fma_f64 v[179:180], v[203:204], v[181:182], v[179:180]
	s_clause 0x1
	global_load_b128 v[181:184], v170, s[4:5] offset:16384
	global_load_b128 v[201:204], v170, s[4:5] offset:18432
	ds_load_b128 v[205:208], v170 offset:16384
	ds_load_b128 v[209:212], v170 offset:18432
	s_wait_loadcnt_dscnt 0x101
	v_mul_f64_e32 v[213:214], v[207:208], v[183:184]
	v_mul_f64_e32 v[183:184], v[205:206], v[183:184]
	s_delay_alu instid0(VALU_DEP_2) | instskip(NEXT) | instid1(VALU_DEP_2)
	v_fma_f64 v[205:206], v[205:206], v[181:182], -v[213:214]
	v_fma_f64 v[207:208], v[207:208], v[181:182], v[183:184]
	s_wait_loadcnt_dscnt 0x0
	v_mul_f64_e32 v[181:182], v[211:212], v[203:204]
	v_mul_f64_e32 v[183:184], v[209:210], v[203:204]
	s_delay_alu instid0(VALU_DEP_2) | instskip(NEXT) | instid1(VALU_DEP_2)
	v_fma_f64 v[181:182], v[209:210], v[201:202], -v[181:182]
	v_fma_f64 v[183:184], v[211:212], v[201:202], v[183:184]
	s_clause 0x1
	global_load_b128 v[201:204], v170, s[4:5] offset:20480
	global_load_b128 v[209:212], v170, s[4:5] offset:22528
	;; [unrolled: 17-line block ×4, first 2 shown]
	ds_load_b128 v[229:232], v170 offset:28672
	ds_load_b128 v[233:236], v170 offset:30720
	s_wait_loadcnt_dscnt 0x101
	v_mul_f64_e32 v[237:238], v[231:232], v[219:220]
	v_mul_f64_e32 v[219:220], v[229:230], v[219:220]
	s_delay_alu instid0(VALU_DEP_2) | instskip(NEXT) | instid1(VALU_DEP_2)
	v_fma_f64 v[229:230], v[229:230], v[217:218], -v[237:238]
	v_fma_f64 v[231:232], v[231:232], v[217:218], v[219:220]
	s_wait_loadcnt_dscnt 0x0
	v_mul_f64_e32 v[217:218], v[235:236], v[227:228]
	v_mul_f64_e32 v[219:220], v[233:234], v[227:228]
	s_delay_alu instid0(VALU_DEP_2) | instskip(NEXT) | instid1(VALU_DEP_2)
	v_fma_f64 v[217:218], v[233:234], v[225:226], -v[217:218]
	v_fma_f64 v[219:220], v[235:236], v[225:226], v[219:220]
	ds_store_b128 v170, v[185:188]
	ds_store_b128 v170, v[189:192] offset:2048
	ds_store_b128 v170, v[157:160] offset:4096
	;; [unrolled: 1-line block ×15, first 2 shown]
.LBB0_13:
	s_wait_alu 0xfffe
	s_or_b32 exec_lo, exec_lo, s6
	global_wb scope:SCOPE_SE
	s_wait_dscnt 0x0
	s_barrier_signal -1
	s_barrier_wait -1
	global_inv scope:SCOPE_SE
	s_and_saveexec_b32 s4, vcc_lo
	s_cbranch_execz .LBB0_15
; %bb.14:
	v_or_b32_e32 v101, 0x3800, v170
	v_or_b32_e32 v102, 0x7800, v170
	ds_load_b128 v[121:124], v170
	ds_load_b128 v[125:128], v170 offset:2048
	ds_load_b128 v[129:132], v170 offset:4096
	;; [unrolled: 1-line block ×13, first 2 shown]
	ds_load_b128 v[149:152], v101
	ds_load_b128 v[101:104], v102
.LBB0_15:
	s_wait_alu 0xfffe
	s_or_b32 exec_lo, exec_lo, s4
	s_wait_dscnt 0x8
	v_add_f64_e64 v[89:90], v[121:122], -v[89:90]
	v_add_f64_e64 v[91:92], v[123:124], -v[91:92]
	s_wait_dscnt 0x4
	v_add_f64_e64 v[117:118], v[137:138], -v[117:118]
	v_add_f64_e64 v[119:120], v[139:140], -v[119:120]
	;; [unrolled: 1-line block ×4, first 2 shown]
	s_wait_dscnt 0x2
	v_add_f64_e64 v[109:110], v[145:146], -v[109:110]
	v_add_f64_e64 v[111:112], v[147:148], -v[111:112]
	;; [unrolled: 1-line block ×8, first 2 shown]
	s_wait_dscnt 0x0
	v_add_f64_e64 v[103:104], v[151:152], -v[103:104]
	v_add_f64_e64 v[101:102], v[149:150], -v[101:102]
	s_mov_b32 s4, 0x667f3bcd
	s_mov_b32 s5, 0xbfe6a09e
	s_wait_alu 0xfffe
	s_mov_b32 s6, s4
	s_mov_b32 s10, 0xcf328d46
	;; [unrolled: 1-line block ×6, first 2 shown]
	s_wait_alu 0xfffe
	s_mov_b32 s16, s14
	s_mov_b32 s18, s10
	global_wb scope:SCOPE_SE
	s_barrier_signal -1
	s_barrier_wait -1
	global_inv scope:SCOPE_SE
	v_fma_f64 v[121:122], v[121:122], 2.0, -v[89:90]
	v_fma_f64 v[123:124], v[123:124], 2.0, -v[91:92]
	v_add_f64_e64 v[155:156], v[91:92], -v[117:118]
	v_add_f64_e32 v[153:154], v[89:90], v[119:120]
	v_fma_f64 v[117:118], v[137:138], 2.0, -v[117:118]
	v_fma_f64 v[119:120], v[139:140], 2.0, -v[119:120]
	v_add_f64_e64 v[159:160], v[99:100], -v[109:110]
	v_add_f64_e32 v[157:158], v[111:112], v[97:98]
	;; [unrolled: 4-line block ×3, first 2 shown]
	v_fma_f64 v[109:110], v[145:146], 2.0, -v[109:110]
	v_fma_f64 v[111:112], v[147:148], 2.0, -v[111:112]
	v_add_f64_e32 v[177:178], v[103:104], v[105:106]
	v_add_f64_e64 v[179:180], v[107:108], -v[101:102]
	v_fma_f64 v[125:126], v[125:126], 2.0, -v[93:94]
	v_fma_f64 v[127:128], v[127:128], 2.0, -v[95:96]
	;; [unrolled: 1-line block ×10, first 2 shown]
	v_add_f64_e64 v[117:118], v[121:122], -v[117:118]
	v_add_f64_e64 v[119:120], v[123:124], -v[119:120]
	v_fma_f64 v[99:100], v[99:100], 2.0, -v[159:160]
	v_fma_f64 v[97:98], v[97:98], 2.0, -v[157:158]
	v_fma_f64 v[137:138], v[157:158], s[6:7], v[153:154]
	v_fma_f64 v[139:140], v[159:160], s[6:7], v[155:156]
	v_fma_f64 v[95:96], v[95:96], 2.0, -v[175:176]
	v_fma_f64 v[93:94], v[93:94], 2.0, -v[173:174]
	v_add_f64_e64 v[109:110], v[129:130], -v[109:110]
	v_add_f64_e64 v[111:112], v[131:132], -v[111:112]
	v_fma_f64 v[105:106], v[105:106], 2.0, -v[177:178]
	v_fma_f64 v[107:108], v[107:108], 2.0, -v[179:180]
	v_fma_f64 v[141:142], v[177:178], s[6:7], v[173:174]
	v_fma_f64 v[143:144], v[179:180], s[6:7], v[175:176]
	v_add_f64_e64 v[113:114], v[125:126], -v[113:114]
	v_add_f64_e64 v[115:116], v[127:128], -v[115:116]
	;; [unrolled: 1-line block ×4, first 2 shown]
	v_fma_f64 v[121:122], v[121:122], 2.0, -v[117:118]
	v_fma_f64 v[123:124], v[123:124], 2.0, -v[119:120]
	v_fma_f64 v[147:148], v[99:100], s[4:5], v[91:92]
	v_fma_f64 v[145:146], v[97:98], s[4:5], v[89:90]
	;; [unrolled: 1-line block ×4, first 2 shown]
	v_fma_f64 v[129:130], v[129:130], 2.0, -v[109:110]
	v_fma_f64 v[131:132], v[131:132], 2.0, -v[111:112]
	v_fma_f64 v[149:150], v[105:106], s[4:5], v[93:94]
	v_fma_f64 v[151:152], v[107:108], s[4:5], v[95:96]
	v_add_f64_e32 v[111:112], v[117:118], v[111:112]
	v_add_f64_e64 v[109:110], v[119:120], -v[109:110]
	v_fma_f64 v[125:126], v[125:126], 2.0, -v[113:114]
	v_fma_f64 v[127:128], v[127:128], 2.0, -v[115:116]
	v_fma_f64 v[139:140], v[179:180], s[6:7], v[141:142]
	v_fma_f64 v[137:138], v[177:178], s[4:5], v[143:144]
	v_fma_f64 v[133:134], v[133:134], 2.0, -v[101:102]
	v_fma_f64 v[135:136], v[135:136], 2.0, -v[103:104]
	v_add_f64_e32 v[103:104], v[103:104], v[113:114]
	v_add_f64_e64 v[101:102], v[115:116], -v[101:102]
	v_fma_f64 v[179:180], v[97:98], s[4:5], v[147:148]
	v_fma_f64 v[177:178], v[99:100], s[6:7], v[145:146]
	v_fma_f64 v[153:154], v[153:154], 2.0, -v[159:160]
	v_fma_f64 v[155:156], v[155:156], 2.0, -v[157:158]
	v_fma_f64 v[97:98], v[107:108], s[6:7], v[149:150]
	v_fma_f64 v[99:100], v[105:106], s[4:5], v[151:152]
	v_add_f64_e64 v[105:106], v[121:122], -v[129:130]
	v_add_f64_e64 v[107:108], v[123:124], -v[131:132]
	v_fma_f64 v[151:152], v[117:118], 2.0, -v[111:112]
	v_fma_f64 v[181:182], v[119:120], 2.0, -v[109:110]
	v_fma_f64 v[141:142], v[173:174], 2.0, -v[139:140]
	v_fma_f64 v[143:144], v[175:176], 2.0, -v[137:138]
	v_add_f64_e64 v[117:118], v[125:126], -v[133:134]
	v_add_f64_e64 v[119:120], v[127:128], -v[135:136]
	v_fma_f64 v[133:134], v[113:114], 2.0, -v[103:104]
	v_fma_f64 v[135:136], v[115:116], 2.0, -v[101:102]
	s_wait_alu 0xfffe
	v_fma_f64 v[113:114], v[139:140], s[18:19], v[159:160]
	v_fma_f64 v[197:198], v[137:138], s[18:19], v[157:158]
	v_fma_f64 v[175:176], v[91:92], 2.0, -v[179:180]
	v_fma_f64 v[173:174], v[89:90], 2.0, -v[177:178]
	;; [unrolled: 1-line block ×4, first 2 shown]
	v_fma_f64 v[93:94], v[103:104], s[6:7], v[111:112]
	v_fma_f64 v[95:96], v[101:102], s[6:7], v[109:110]
	v_fma_f64 v[183:184], v[121:122], 2.0, -v[105:106]
	v_fma_f64 v[185:186], v[123:124], 2.0, -v[107:108]
	v_fma_f64 v[149:150], v[141:142], s[16:17], v[153:154]
	v_fma_f64 v[187:188], v[143:144], s[16:17], v[155:156]
	v_fma_f64 v[115:116], v[125:126], 2.0, -v[117:118]
	v_fma_f64 v[121:122], v[127:128], 2.0, -v[119:120]
	v_fma_f64 v[123:124], v[133:134], s[4:5], v[151:152]
	v_fma_f64 v[127:128], v[135:136], s[4:5], v[181:182]
	;; [unrolled: 1-line block ×4, first 2 shown]
	v_add_f64_e32 v[129:130], v[105:106], v[119:120]
	v_add_f64_e64 v[131:132], v[107:108], -v[117:118]
	v_fma_f64 v[137:138], v[137:138], s[14:15], v[113:114]
	v_fma_f64 v[139:140], v[139:140], s[16:17], v[197:198]
	;; [unrolled: 1-line block ×6, first 2 shown]
	v_add_f64_e64 v[113:114], v[183:184], -v[115:116]
	v_add_f64_e64 v[115:116], v[185:186], -v[121:122]
	v_fma_f64 v[125:126], v[135:136], s[6:7], v[123:124]
	v_fma_f64 v[127:128], v[133:134], s[4:5], v[127:128]
	v_fma_f64 v[133:134], v[143:144], s[18:19], v[149:150]
	v_fma_f64 v[135:136], v[141:142], s[10:11], v[187:188]
	v_fma_f64 v[141:142], v[99:100], s[18:19], v[189:190]
	v_fma_f64 v[143:144], v[97:98], s[10:11], v[191:192]
	v_fma_f64 v[97:98], v[105:106], 2.0, -v[129:130]
	v_fma_f64 v[99:100], v[107:108], 2.0, -v[131:132]
	;; [unrolled: 1-line block ×3, first 2 shown]
	v_fma_f64 v[117:118], v[91:92], s[14:15], v[193:194]
	v_fma_f64 v[119:120], v[89:90], s[16:17], v[195:196]
	v_fma_f64 v[121:122], v[111:112], 2.0, -v[145:146]
	v_fma_f64 v[123:124], v[109:110], 2.0, -v[147:148]
	;; [unrolled: 1-line block ×13, first 2 shown]
	s_and_saveexec_b32 s4, vcc_lo
	s_cbranch_execz .LBB0_17
; %bb.16:
	ds_store_b128 v172, v[89:92]
	ds_store_b128 v172, v[93:96] offset:16
	ds_store_b128 v172, v[101:104] offset:32
	;; [unrolled: 1-line block ×15, first 2 shown]
.LBB0_17:
	s_wait_alu 0xfffe
	s_or_b32 exec_lo, exec_lo, s4
	global_wb scope:SCOPE_SE
	s_wait_dscnt 0x0
	s_barrier_signal -1
	s_barrier_wait -1
	global_inv scope:SCOPE_SE
	s_and_saveexec_b32 s4, vcc_lo
	s_cbranch_execz .LBB0_19
; %bb.18:
	v_or_b32_e32 v137, 0x3800, v170
	v_or_b32_e32 v138, 0x7800, v170
	ds_load_b128 v[89:92], v170
	ds_load_b128 v[93:96], v170 offset:2048
	ds_load_b128 v[101:104], v170 offset:4096
	;; [unrolled: 1-line block ×13, first 2 shown]
	ds_load_b128 v[149:152], v137
	ds_load_b128 v[137:140], v138
.LBB0_19:
	s_wait_alu 0xfffe
	s_or_b32 exec_lo, exec_lo, s4
	global_wb scope:SCOPE_SE
	s_wait_dscnt 0x0
	s_barrier_signal -1
	s_barrier_wait -1
	global_inv scope:SCOPE_SE
	s_and_saveexec_b32 s10, vcc_lo
	s_cbranch_execz .LBB0_21
; %bb.20:
	v_mul_f64_e32 v[153:154], v[15:16], v[101:102]
	v_mul_f64_e32 v[155:156], v[39:40], v[125:126]
	;; [unrolled: 1-line block ×30, first 2 shown]
	s_mov_b32 s4, 0x667f3bcd
	s_mov_b32 s5, 0x3fe6a09e
	s_mov_b32 s7, 0xbfe6a09e
	s_wait_alu 0xfffe
	s_mov_b32 s6, s4
	s_mov_b32 s14, 0xcf328d46
	;; [unrolled: 1-line block ×5, first 2 shown]
	v_fma_f64 v[103:104], v[13:14], v[103:104], -v[153:154]
	v_fma_f64 v[127:128], v[37:38], v[127:128], -v[155:156]
	v_fma_f64 v[121:122], v[29:30], v[121:122], v[157:158]
	v_fma_f64 v[145:146], v[57:58], v[145:146], v[159:160]
	v_fma_f64 v[115:116], v[17:18], v[115:116], -v[172:173]
	v_fma_f64 v[97:98], v[5:6], v[97:98], v[174:175]
	v_fma_f64 v[129:130], v[33:34], v[129:130], v[176:177]
	v_fma_f64 v[29:30], v[29:30], v[123:124], -v[31:32]
	v_fma_f64 v[31:32], v[57:58], v[147:148], -v[59:60]
	v_fma_f64 v[13:14], v[13:14], v[101:102], v[15:16]
	v_fma_f64 v[15:16], v[37:38], v[125:126], v[39:40]
	v_fma_f64 v[37:38], v[9:10], v[107:108], -v[178:179]
	;; [unrolled: 4-line block ×6, first 2 shown]
	v_fma_f64 v[7:8], v[33:34], v[131:132], -v[35:36]
	v_fma_f64 v[17:18], v[17:18], v[113:114], v[19:20]
	s_mov_b32 s19, 0x3fd87de2
	s_wait_alu 0xfffe
	s_mov_b32 s18, s16
	s_mov_b32 s21, 0xbfed906b
	;; [unrolled: 1-line block ×3, first 2 shown]
	v_add_f64_e64 v[19:20], v[103:104], -v[127:128]
	v_add_f64_e64 v[33:34], v[121:122], -v[145:146]
	;; [unrolled: 1-line block ×17, first 2 shown]
	v_fma_f64 v[91:92], v[91:92], 2.0, -v[35:36]
	v_add_f64_e64 v[49:50], v[35:36], -v[41:42]
	v_fma_f64 v[29:30], v[29:30], 2.0, -v[31:32]
	v_add_f64_e32 v[53:54], v[31:32], v[15:16]
	v_add_f64_e64 v[59:60], v[39:40], -v[43:44]
	v_fma_f64 v[43:44], v[57:58], 2.0, -v[43:44]
	v_add_f64_e64 v[55:56], v[45:46], -v[47:48]
	v_fma_f64 v[31:32], v[107:108], 2.0, -v[47:48]
	v_fma_f64 v[47:48], v[95:96], 2.0, -v[45:46]
	;; [unrolled: 1-line block ×3, first 2 shown]
	v_add_f64_e32 v[93:94], v[27:28], v[11:12]
	v_fma_f64 v[9:10], v[9:10], 2.0, -v[11:12]
	v_fma_f64 v[21:22], v[21:22], 2.0, -v[23:24]
	v_add_f64_e32 v[99:100], v[23:24], v[3:4]
	v_fma_f64 v[1:2], v[1:2], 2.0, -v[3:4]
	v_fma_f64 v[5:6], v[5:6], 2.0, -v[7:8]
	;; [unrolled: 3-line block ×3, first 2 shown]
	v_fma_f64 v[33:34], v[103:104], 2.0, -v[19:20]
	v_fma_f64 v[23:24], v[37:38], 2.0, -v[39:40]
	;; [unrolled: 1-line block ×9, first 2 shown]
	v_fma_f64 v[45:46], v[51:52], s[4:5], v[49:50]
	v_fma_f64 v[57:58], v[59:60], s[4:5], v[55:56]
	v_fma_f64 v[11:12], v[11:12], 2.0, -v[93:94]
	v_add_f64_e64 v[43:44], v[9:10], -v[43:44]
	v_add_f64_e64 v[21:22], v[47:48], -v[21:22]
	v_fma_f64 v[3:4], v[3:4], 2.0, -v[99:100]
	v_add_f64_e64 v[31:32], v[1:2], -v[31:32]
	v_add_f64_e64 v[5:6], v[91:92], -v[5:6]
	v_fma_f64 v[17:18], v[17:18], 2.0, -v[101:102]
	v_fma_f64 v[89:90], v[93:94], s[4:5], v[99:100]
	v_add_f64_e64 v[13:14], v[7:8], -v[13:14]
	v_add_f64_e64 v[29:30], v[33:34], -v[29:30]
	;; [unrolled: 1-line block ×3, first 2 shown]
	v_fma_f64 v[95:96], v[53:54], s[4:5], v[101:102]
	v_add_f64_e64 v[37:38], v[27:28], -v[37:38]
	v_fma_f64 v[97:98], v[19:20], s[6:7], v[35:36]
	v_fma_f64 v[103:104], v[39:40], s[6:7], v[41:42]
	;; [unrolled: 1-line block ×4, first 2 shown]
	v_fma_f64 v[9:10], v[9:10], 2.0, -v[43:44]
	v_add_f64_e64 v[43:44], v[21:22], -v[43:44]
	v_fma_f64 v[105:106], v[11:12], s[6:7], v[3:4]
	v_fma_f64 v[1:2], v[1:2], 2.0, -v[31:32]
	v_fma_f64 v[57:58], v[91:92], 2.0, -v[5:6]
	v_fma_f64 v[107:108], v[15:16], s[6:7], v[17:18]
	v_fma_f64 v[59:60], v[59:60], s[4:5], v[89:90]
	v_add_f64_e64 v[89:90], v[5:6], -v[13:14]
	v_fma_f64 v[33:34], v[33:34], 2.0, -v[29:30]
	v_add_f64_e32 v[91:92], v[25:26], v[31:32]
	v_fma_f64 v[51:52], v[51:52], s[4:5], v[95:96]
	v_add_f64_e32 v[93:94], v[37:38], v[29:30]
	v_fma_f64 v[27:28], v[27:28], 2.0, -v[37:38]
	v_fma_f64 v[7:8], v[7:8], 2.0, -v[13:14]
	;; [unrolled: 1-line block ×4, first 2 shown]
	v_fma_f64 v[95:96], v[15:16], s[6:7], v[97:98]
	v_fma_f64 v[25:26], v[11:12], s[6:7], v[103:104]
	v_fma_f64 v[49:50], v[49:50], 2.0, -v[45:46]
	v_fma_f64 v[21:22], v[21:22], 2.0, -v[43:44]
	v_fma_f64 v[29:30], v[39:40], s[4:5], v[105:106]
	v_add_f64_e64 v[9:10], v[1:2], -v[9:10]
	v_fma_f64 v[97:98], v[19:20], s[4:5], v[107:108]
	v_fma_f64 v[15:16], v[99:100], 2.0, -v[59:60]
	v_add_f64_e64 v[47:48], v[57:58], -v[33:34]
	v_fma_f64 v[33:34], v[55:56], 2.0, -v[53:54]
	v_fma_f64 v[55:56], v[5:6], 2.0, -v[89:90]
	;; [unrolled: 1-line block ×5, first 2 shown]
	v_add_f64_e64 v[103:104], v[27:28], -v[7:8]
	v_add_f64_e64 v[23:24], v[13:14], -v[23:24]
	v_fma_f64 v[5:6], v[43:44], s[4:5], v[89:90]
	v_fma_f64 v[11:12], v[91:92], s[4:5], v[93:94]
	v_fma_f64 v[105:106], v[35:36], 2.0, -v[95:96]
	v_fma_f64 v[35:36], v[41:42], 2.0, -v[25:26]
	s_wait_alu 0xfffe
	v_fma_f64 v[37:38], v[25:26], s[18:19], v[95:96]
	v_fma_f64 v[31:32], v[3:4], 2.0, -v[29:30]
	v_fma_f64 v[3:4], v[53:54], s[14:15], v[45:46]
	v_fma_f64 v[119:120], v[1:2], 2.0, -v[9:10]
	v_fma_f64 v[107:108], v[17:18], 2.0, -v[97:98]
	v_fma_f64 v[17:18], v[59:60], s[14:15], v[51:52]
	v_fma_f64 v[39:40], v[29:30], s[18:19], v[97:98]
	v_fma_f64 v[57:58], v[57:58], 2.0, -v[47:48]
	v_fma_f64 v[41:42], v[33:34], s[16:17], v[49:50]
	v_fma_f64 v[109:110], v[21:22], s[6:7], v[55:56]
	;; [unrolled: 1-line block ×4, first 2 shown]
	v_fma_f64 v[117:118], v[27:28], 2.0, -v[103:104]
	v_fma_f64 v[115:116], v[13:14], 2.0, -v[23:24]
	v_fma_f64 v[7:8], v[91:92], s[6:7], v[5:6]
	v_fma_f64 v[5:6], v[43:44], s[4:5], v[11:12]
	v_add_f64_e64 v[11:12], v[47:48], -v[9:10]
	v_add_f64_e32 v[9:10], v[103:104], v[23:24]
	v_fma_f64 v[121:122], v[35:36], s[20:21], v[105:106]
	v_fma_f64 v[23:24], v[29:30], s[20:21], v[37:38]
	;; [unrolled: 1-line block ×10, first 2 shown]
	v_add_f64_e64 v[27:28], v[57:58], -v[115:116]
	v_add_f64_e64 v[25:26], v[117:118], -v[119:120]
	v_fma_f64 v[39:40], v[89:90], 2.0, -v[7:8]
	v_fma_f64 v[37:38], v[93:94], 2.0, -v[5:6]
	v_fma_f64 v[43:44], v[47:48], 2.0, -v[11:12]
	v_fma_f64 v[41:42], v[103:104], 2.0, -v[9:10]
	v_and_or_b32 v93, 0x700, v170, v171
	s_delay_alu instid0(VALU_DEP_1)
	v_lshlrev_b32_e32 v93, 4, v93
	v_fma_f64 v[31:32], v[31:32], s[16:17], v[121:122]
	v_fma_f64 v[29:30], v[35:36], s[18:19], v[123:124]
	v_fma_f64 v[35:36], v[45:46], 2.0, -v[3:4]
	v_fma_f64 v[33:34], v[51:52], 2.0, -v[1:2]
	;; [unrolled: 1-line block ×12, first 2 shown]
	ds_store_b128 v93, v[37:40] offset:1536
	ds_store_b128 v93, v[33:36] offset:1792
	;; [unrolled: 1-line block ×12, first 2 shown]
	ds_store_b128 v93, v[57:60]
	ds_store_b128 v93, v[89:92] offset:256
	ds_store_b128 v93, v[5:8] offset:3584
	;; [unrolled: 1-line block ×3, first 2 shown]
.LBB0_21:
	s_wait_alu 0xfffe
	s_or_b32 exec_lo, exec_lo, s10
	global_wb scope:SCOPE_SE
	s_wait_dscnt 0x0
	s_barrier_signal -1
	s_barrier_wait -1
	global_inv scope:SCOPE_SE
	ds_load_b128 v[1:4], v170 offset:4096
	ds_load_b128 v[5:8], v170 offset:8192
	;; [unrolled: 1-line block ×7, first 2 shown]
	s_mov_b32 s4, 0x667f3bcd
	s_mov_b32 s5, 0xbfe6a09e
	;; [unrolled: 1-line block ×3, first 2 shown]
	s_wait_alu 0xfffe
	s_mov_b32 s6, s4
	s_wait_dscnt 0x6
	v_mul_f64_e32 v[29:30], v[71:72], v[3:4]
	v_mul_f64_e32 v[31:32], v[71:72], v[1:2]
	s_wait_dscnt 0x5
	v_mul_f64_e32 v[33:34], v[67:68], v[7:8]
	v_mul_f64_e32 v[35:36], v[67:68], v[5:6]
	s_wait_dscnt 0x4
	v_mul_f64_e32 v[37:38], v[63:64], v[11:12]
	v_mul_f64_e32 v[39:40], v[63:64], v[9:10]
	s_wait_dscnt 0x3
	v_mul_f64_e32 v[41:42], v[75:76], v[15:16]
	v_mul_f64_e32 v[43:44], v[75:76], v[13:14]
	s_wait_dscnt 0x2
	v_mul_f64_e32 v[45:46], v[87:88], v[19:20]
	v_mul_f64_e32 v[47:48], v[87:88], v[17:18]
	s_wait_dscnt 0x1
	v_mul_f64_e32 v[49:50], v[83:84], v[23:24]
	v_mul_f64_e32 v[51:52], v[83:84], v[21:22]
	s_wait_dscnt 0x0
	v_mul_f64_e32 v[53:54], v[79:80], v[27:28]
	v_mul_f64_e32 v[55:56], v[79:80], v[25:26]
	v_fma_f64 v[29:30], v[69:70], v[1:2], v[29:30]
	v_fma_f64 v[31:32], v[69:70], v[3:4], -v[31:32]
	v_fma_f64 v[5:6], v[65:66], v[5:6], v[33:34]
	v_fma_f64 v[7:8], v[65:66], v[7:8], -v[35:36]
	;; [unrolled: 2-line block ×7, first 2 shown]
	ds_load_b128 v[1:4], v170
	s_wait_dscnt 0x0
	v_add_f64_e64 v[9:10], v[1:2], -v[9:10]
	v_add_f64_e64 v[11:12], v[3:4], -v[11:12]
	;; [unrolled: 1-line block ×8, first 2 shown]
	v_fma_f64 v[1:2], v[1:2], 2.0, -v[9:10]
	v_fma_f64 v[3:4], v[3:4], 2.0, -v[11:12]
	;; [unrolled: 1-line block ×6, first 2 shown]
	v_add_f64_e32 v[33:34], v[9:10], v[15:16]
	v_add_f64_e64 v[35:36], v[11:12], -v[13:14]
	v_fma_f64 v[13:14], v[21:22], 2.0, -v[25:26]
	v_fma_f64 v[15:16], v[23:24], 2.0, -v[27:28]
	v_add_f64_e32 v[21:22], v[17:18], v[27:28]
	v_add_f64_e64 v[23:24], v[19:20], -v[25:26]
	v_add_f64_e64 v[25:26], v[1:2], -v[5:6]
	v_add_f64_e64 v[27:28], v[3:4], -v[7:8]
	v_fma_f64 v[37:38], v[9:10], 2.0, -v[33:34]
	v_fma_f64 v[39:40], v[11:12], 2.0, -v[35:36]
	v_add_f64_e64 v[5:6], v[29:30], -v[13:14]
	v_add_f64_e64 v[7:8], v[31:32], -v[15:16]
	v_fma_f64 v[15:16], v[17:18], 2.0, -v[21:22]
	v_fma_f64 v[13:14], v[19:20], 2.0, -v[23:24]
	s_wait_alu 0xfffe
	v_fma_f64 v[9:10], v[21:22], s[6:7], v[33:34]
	v_fma_f64 v[11:12], v[23:24], s[6:7], v[35:36]
	v_fma_f64 v[41:42], v[1:2], 2.0, -v[25:26]
	v_fma_f64 v[43:44], v[3:4], 2.0, -v[27:28]
	;; [unrolled: 1-line block ×4, first 2 shown]
	v_fma_f64 v[29:30], v[15:16], s[4:5], v[37:38]
	v_fma_f64 v[31:32], v[13:14], s[4:5], v[39:40]
	v_add_f64_e32 v[1:2], v[25:26], v[7:8]
	v_add_f64_e64 v[3:4], v[27:28], -v[5:6]
	v_fma_f64 v[5:6], v[23:24], s[6:7], v[9:10]
	v_fma_f64 v[7:8], v[21:22], s[4:5], v[11:12]
	v_add_f64_e64 v[9:10], v[41:42], -v[17:18]
	v_add_f64_e64 v[11:12], v[43:44], -v[19:20]
	v_fma_f64 v[13:14], v[13:14], s[6:7], v[29:30]
	v_fma_f64 v[15:16], v[15:16], s[4:5], v[31:32]
	v_fma_f64 v[17:18], v[25:26], 2.0, -v[1:2]
	v_fma_f64 v[19:20], v[27:28], 2.0, -v[3:4]
	;; [unrolled: 1-line block ×8, first 2 shown]
	ds_store_b128 v170, v[1:4] offset:24576
	ds_store_b128 v170, v[5:8] offset:28672
	;; [unrolled: 1-line block ×6, first 2 shown]
	ds_store_b128 v170, v[25:28]
	ds_store_b128 v170, v[29:32] offset:4096
	global_wb scope:SCOPE_SE
	s_wait_dscnt 0x0
	s_barrier_signal -1
	s_barrier_wait -1
	global_inv scope:SCOPE_SE
	s_and_b32 exec_lo, exec_lo, vcc_lo
	s_cbranch_execz .LBB0_23
; %bb.22:
	s_clause 0xf
	global_load_b128 v[1:4], v170, s[12:13]
	global_load_b128 v[5:8], v170, s[12:13] offset:2048
	global_load_b128 v[9:12], v170, s[12:13] offset:4096
	;; [unrolled: 1-line block ×15, first 2 shown]
	v_mad_co_u64_u32 v[129:130], null, s2, v161, 0
	v_mad_co_u64_u32 v[131:132], null, s0, v0, 0
	;; [unrolled: 1-line block ×4, first 2 shown]
	ds_load_b128 v[65:68], v170
	ds_load_b128 v[69:72], v170 offset:2048
	v_mad_co_u64_u32 v[137:138], null, s0, v164, 0
	v_mad_co_u64_u32 v[139:140], null, s0, v165, 0
	ds_load_b128 v[73:76], v170 offset:4096
	ds_load_b128 v[77:80], v170 offset:6144
	v_mad_co_u64_u32 v[141:142], null, s0, v166, 0
	v_mad_co_u64_u32 v[143:144], null, s0, v167, 0
	ds_load_b128 v[81:84], v170 offset:8192
	ds_load_b128 v[85:88], v170 offset:10240
	v_mad_co_u64_u32 v[145:146], null, s0, v168, 0
	v_mad_co_u64_u32 v[147:148], null, s0, v169, 0
	;; [unrolled: 1-line block ×3, first 2 shown]
	ds_load_b128 v[89:92], v170 offset:12288
	ds_load_b128 v[93:96], v170 offset:14336
	v_mad_co_u64_u32 v[150:151], null, s1, v0, v[132:133]
	v_mad_co_u64_u32 v[151:152], null, s1, v162, v[134:135]
	ds_load_b128 v[97:100], v170 offset:16384
	ds_load_b128 v[101:104], v170 offset:18432
	v_mad_co_u64_u32 v[152:153], null, s1, v163, v[136:137]
	v_mad_co_u64_u32 v[153:154], null, s1, v164, v[138:139]
	;; [unrolled: 4-line block ×4, first 2 shown]
	ds_load_b128 v[121:124], v170 offset:28672
	ds_load_b128 v[125:128], v170 offset:30720
	v_mad_co_u64_u32 v[158:159], null, s1, v169, v[148:149]
	v_mov_b32_e32 v134, v151
	v_mov_b32_e32 v136, v152
	;; [unrolled: 1-line block ×10, first 2 shown]
	v_lshlrev_b64_e32 v[133:134], 4, v[133:134]
	v_lshlrev_b64_e32 v[135:136], 4, v[135:136]
	;; [unrolled: 1-line block ×5, first 2 shown]
	s_lshl_b64 s[4:5], s[0:1], 12
	v_lshlrev_b64_e32 v[139:140], 4, v[139:140]
	v_lshlrev_b64_e32 v[141:142], 4, v[141:142]
	;; [unrolled: 1-line block ×3, first 2 shown]
	v_add_co_u32 v185, vcc_lo, s8, v129
	v_add_co_ci_u32_e32 v186, vcc_lo, s9, v130, vcc_lo
	v_lshlrev_b64_e32 v[129:130], 4, v[147:148]
	s_delay_alu instid0(VALU_DEP_3) | instskip(SKIP_1) | instid1(VALU_DEP_3)
	v_add_co_u32 v131, vcc_lo, v185, v131
	s_wait_alu 0xfffd
	v_add_co_ci_u32_e32 v132, vcc_lo, v186, v132, vcc_lo
	v_add_co_u32 v133, vcc_lo, v185, v133
	s_wait_alu 0xfffd
	v_add_co_ci_u32_e32 v134, vcc_lo, v186, v134, vcc_lo
	;; [unrolled: 3-line block ×3, first 2 shown]
	s_wait_alu 0xfffe
	v_add_co_u32 v147, vcc_lo, v131, s4
	s_wait_alu 0xfffd
	v_add_co_ci_u32_e32 v148, vcc_lo, s5, v132, vcc_lo
	v_add_co_u32 v137, vcc_lo, v185, v137
	s_wait_alu 0xfffd
	v_add_co_ci_u32_e32 v138, vcc_lo, v186, v138, vcc_lo
	;; [unrolled: 3-line block ×5, first 2 shown]
	v_lshlrev_b64_e32 v[145:146], 4, v[145:146]
	s_wait_loadcnt_dscnt 0xf0f
	v_mul_f64_e32 v[151:152], v[67:68], v[3:4]
	v_mul_f64_e32 v[3:4], v[65:66], v[3:4]
	s_wait_loadcnt_dscnt 0xe0e
	v_mul_f64_e32 v[153:154], v[71:72], v[7:8]
	v_mul_f64_e32 v[7:8], v[69:70], v[7:8]
	;; [unrolled: 3-line block ×16, first 2 shown]
	v_fma_f64 v[65:66], v[65:66], v[1:2], v[151:152]
	v_fma_f64 v[2:3], v[1:2], v[67:68], -v[3:4]
	v_fma_f64 v[67:68], v[69:70], v[5:6], v[153:154]
	v_fma_f64 v[6:7], v[5:6], v[71:72], -v[7:8]
	;; [unrolled: 2-line block ×16, first 2 shown]
	v_add_co_u32 v97, vcc_lo, v185, v141
	s_wait_alu 0xfffd
	v_add_co_ci_u32_e32 v98, vcc_lo, v186, v142, vcc_lo
	v_add_co_u32 v99, vcc_lo, v183, s4
	v_ldexp_f64 v[0:1], v[65:66], -11
	v_ldexp_f64 v[2:3], v[2:3], -11
	v_ldexp_f64 v[4:5], v[67:68], -11
	v_ldexp_f64 v[6:7], v[6:7], -11
	v_ldexp_f64 v[8:9], v[69:70], -11
	v_ldexp_f64 v[10:11], v[10:11], -11
	v_ldexp_f64 v[12:13], v[71:72], -11
	v_ldexp_f64 v[14:15], v[14:15], -11
	v_ldexp_f64 v[16:17], v[73:74], -11
	v_ldexp_f64 v[18:19], v[18:19], -11
	v_ldexp_f64 v[20:21], v[75:76], -11
	v_ldexp_f64 v[22:23], v[22:23], -11
	v_ldexp_f64 v[24:25], v[77:78], -11
	v_ldexp_f64 v[26:27], v[26:27], -11
	v_ldexp_f64 v[28:29], v[79:80], -11
	v_ldexp_f64 v[30:31], v[30:31], -11
	v_ldexp_f64 v[32:33], v[81:82], -11
	v_ldexp_f64 v[34:35], v[34:35], -11
	v_ldexp_f64 v[36:37], v[83:84], -11
	v_ldexp_f64 v[38:39], v[38:39], -11
	v_ldexp_f64 v[40:41], v[85:86], -11
	v_ldexp_f64 v[42:43], v[42:43], -11
	v_ldexp_f64 v[44:45], v[87:88], -11
	v_ldexp_f64 v[46:47], v[46:47], -11
	v_ldexp_f64 v[48:49], v[89:90], -11
	v_ldexp_f64 v[50:51], v[50:51], -11
	v_ldexp_f64 v[52:53], v[91:92], -11
	v_ldexp_f64 v[54:55], v[54:55], -11
	v_ldexp_f64 v[56:57], v[93:94], -11
	v_ldexp_f64 v[58:59], v[58:59], -11
	v_ldexp_f64 v[60:61], v[95:96], -11
	v_ldexp_f64 v[62:63], v[62:63], -11
	s_wait_alu 0xfffd
	v_add_co_ci_u32_e32 v100, vcc_lo, s5, v184, vcc_lo
	v_add_co_u32 v64, vcc_lo, v185, v143
	s_wait_alu 0xfffd
	v_add_co_ci_u32_e32 v65, vcc_lo, v186, v144, vcc_lo
	v_add_co_u32 v66, vcc_lo, v99, s4
	;; [unrolled: 3-line block ×6, first 2 shown]
	s_wait_alu 0xfffd
	v_add_co_ci_u32_e32 v75, vcc_lo, s5, v71, vcc_lo
	s_clause 0x9
	global_store_b128 v[131:132], v[0:3], off
	global_store_b128 v[133:134], v[4:7], off
	;; [unrolled: 1-line block ×16, first 2 shown]
.LBB0_23:
	s_nop 0
	s_sendmsg sendmsg(MSG_DEALLOC_VGPRS)
	s_endpgm
	.section	.rodata,"a",@progbits
	.p2align	6, 0x0
	.amdhsa_kernel bluestein_single_fwd_len2048_dim1_dp_op_CI_CI
		.amdhsa_group_segment_fixed_size 32768
		.amdhsa_private_segment_fixed_size 0
		.amdhsa_kernarg_size 104
		.amdhsa_user_sgpr_count 2
		.amdhsa_user_sgpr_dispatch_ptr 0
		.amdhsa_user_sgpr_queue_ptr 0
		.amdhsa_user_sgpr_kernarg_segment_ptr 1
		.amdhsa_user_sgpr_dispatch_id 0
		.amdhsa_user_sgpr_private_segment_size 0
		.amdhsa_wavefront_size32 1
		.amdhsa_uses_dynamic_stack 0
		.amdhsa_enable_private_segment 0
		.amdhsa_system_sgpr_workgroup_id_x 1
		.amdhsa_system_sgpr_workgroup_id_y 0
		.amdhsa_system_sgpr_workgroup_id_z 0
		.amdhsa_system_sgpr_workgroup_info 0
		.amdhsa_system_vgpr_workitem_id 0
		.amdhsa_next_free_vgpr 239
		.amdhsa_next_free_sgpr 22
		.amdhsa_reserve_vcc 1
		.amdhsa_float_round_mode_32 0
		.amdhsa_float_round_mode_16_64 0
		.amdhsa_float_denorm_mode_32 3
		.amdhsa_float_denorm_mode_16_64 3
		.amdhsa_fp16_overflow 0
		.amdhsa_workgroup_processor_mode 1
		.amdhsa_memory_ordered 1
		.amdhsa_forward_progress 0
		.amdhsa_round_robin_scheduling 0
		.amdhsa_exception_fp_ieee_invalid_op 0
		.amdhsa_exception_fp_denorm_src 0
		.amdhsa_exception_fp_ieee_div_zero 0
		.amdhsa_exception_fp_ieee_overflow 0
		.amdhsa_exception_fp_ieee_underflow 0
		.amdhsa_exception_fp_ieee_inexact 0
		.amdhsa_exception_int_div_zero 0
	.end_amdhsa_kernel
	.text
.Lfunc_end0:
	.size	bluestein_single_fwd_len2048_dim1_dp_op_CI_CI, .Lfunc_end0-bluestein_single_fwd_len2048_dim1_dp_op_CI_CI
                                        ; -- End function
	.section	.AMDGPU.csdata,"",@progbits
; Kernel info:
; codeLenInByte = 13800
; NumSgprs: 24
; NumVgprs: 239
; ScratchSize: 0
; MemoryBound: 0
; FloatMode: 240
; IeeeMode: 1
; LDSByteSize: 32768 bytes/workgroup (compile time only)
; SGPRBlocks: 2
; VGPRBlocks: 29
; NumSGPRsForWavesPerEU: 24
; NumVGPRsForWavesPerEU: 239
; Occupancy: 6
; WaveLimiterHint : 1
; COMPUTE_PGM_RSRC2:SCRATCH_EN: 0
; COMPUTE_PGM_RSRC2:USER_SGPR: 2
; COMPUTE_PGM_RSRC2:TRAP_HANDLER: 0
; COMPUTE_PGM_RSRC2:TGID_X_EN: 1
; COMPUTE_PGM_RSRC2:TGID_Y_EN: 0
; COMPUTE_PGM_RSRC2:TGID_Z_EN: 0
; COMPUTE_PGM_RSRC2:TIDIG_COMP_CNT: 0
	.text
	.p2alignl 7, 3214868480
	.fill 96, 4, 3214868480
	.type	__hip_cuid_bae55dc8b0c0b154,@object ; @__hip_cuid_bae55dc8b0c0b154
	.section	.bss,"aw",@nobits
	.globl	__hip_cuid_bae55dc8b0c0b154
__hip_cuid_bae55dc8b0c0b154:
	.byte	0                               ; 0x0
	.size	__hip_cuid_bae55dc8b0c0b154, 1

	.ident	"AMD clang version 19.0.0git (https://github.com/RadeonOpenCompute/llvm-project roc-6.4.0 25133 c7fe45cf4b819c5991fe208aaa96edf142730f1d)"
	.section	".note.GNU-stack","",@progbits
	.addrsig
	.addrsig_sym __hip_cuid_bae55dc8b0c0b154
	.amdgpu_metadata
---
amdhsa.kernels:
  - .args:
      - .actual_access:  read_only
        .address_space:  global
        .offset:         0
        .size:           8
        .value_kind:     global_buffer
      - .actual_access:  read_only
        .address_space:  global
        .offset:         8
        .size:           8
        .value_kind:     global_buffer
      - .actual_access:  read_only
        .address_space:  global
        .offset:         16
        .size:           8
        .value_kind:     global_buffer
      - .actual_access:  read_only
        .address_space:  global
        .offset:         24
        .size:           8
        .value_kind:     global_buffer
      - .actual_access:  read_only
        .address_space:  global
        .offset:         32
        .size:           8
        .value_kind:     global_buffer
      - .offset:         40
        .size:           8
        .value_kind:     by_value
      - .address_space:  global
        .offset:         48
        .size:           8
        .value_kind:     global_buffer
      - .address_space:  global
        .offset:         56
        .size:           8
        .value_kind:     global_buffer
      - .address_space:  global
        .offset:         64
        .size:           8
        .value_kind:     global_buffer
      - .address_space:  global
        .offset:         72
        .size:           8
        .value_kind:     global_buffer
      - .offset:         80
        .size:           4
        .value_kind:     by_value
      - .address_space:  global
        .offset:         88
        .size:           8
        .value_kind:     global_buffer
      - .address_space:  global
        .offset:         96
        .size:           8
        .value_kind:     global_buffer
    .group_segment_fixed_size: 32768
    .kernarg_segment_align: 8
    .kernarg_segment_size: 104
    .language:       OpenCL C
    .language_version:
      - 2
      - 0
    .max_flat_workgroup_size: 256
    .name:           bluestein_single_fwd_len2048_dim1_dp_op_CI_CI
    .private_segment_fixed_size: 0
    .sgpr_count:     24
    .sgpr_spill_count: 0
    .symbol:         bluestein_single_fwd_len2048_dim1_dp_op_CI_CI.kd
    .uniform_work_group_size: 1
    .uses_dynamic_stack: false
    .vgpr_count:     239
    .vgpr_spill_count: 0
    .wavefront_size: 32
    .workgroup_processor_mode: 1
amdhsa.target:   amdgcn-amd-amdhsa--gfx1201
amdhsa.version:
  - 1
  - 2
...

	.end_amdgpu_metadata
